;; amdgpu-corpus repo=ROCm/rocFFT kind=compiled arch=gfx1100 opt=O3
	.text
	.amdgcn_target "amdgcn-amd-amdhsa--gfx1100"
	.amdhsa_code_object_version 6
	.protected	bluestein_single_back_len176_dim1_dp_op_CI_CI ; -- Begin function bluestein_single_back_len176_dim1_dp_op_CI_CI
	.globl	bluestein_single_back_len176_dim1_dp_op_CI_CI
	.p2align	8
	.type	bluestein_single_back_len176_dim1_dp_op_CI_CI,@function
bluestein_single_back_len176_dim1_dp_op_CI_CI: ; @bluestein_single_back_len176_dim1_dp_op_CI_CI
; %bb.0:
	s_load_b128 s[16:19], s[0:1], 0x28
	v_lshrrev_b32_e32 v44, 4, v0
	v_mov_b32_e32 v169, 0
	s_mov_b32 s2, exec_lo
	s_delay_alu instid0(VALU_DEP_2) | instskip(SKIP_1) | instid1(VALU_DEP_1)
	v_lshl_or_b32 v168, s15, 2, v44
	s_waitcnt lgkmcnt(0)
	v_cmpx_gt_u64_e64 s[16:17], v[168:169]
	s_cbranch_execz .LBB0_10
; %bb.1:
	s_clause 0x1
	s_load_b128 s[4:7], s[0:1], 0x18
	s_load_b128 s[8:11], s[0:1], 0x0
	v_and_b32_e32 v167, 15, v0
	s_mov_b32 s26, 0xf8bb580b
	s_mov_b32 s22, 0x43842ef
	;; [unrolled: 1-line block ×17, first 2 shown]
	s_waitcnt lgkmcnt(0)
	s_load_b128 s[12:15], s[4:5], 0x0
	s_mov_b32 s30, s26
	s_waitcnt lgkmcnt(0)
	v_mad_u64_u32 v[8:9], null, s12, v167, 0
	v_mad_u64_u32 v[0:1], null, s14, v168, 0
	s_lshl_b64 s[2:3], s[12:13], 8
	s_delay_alu instid0(VALU_DEP_2) | instskip(SKIP_1) | instid1(VALU_DEP_2)
	v_mov_b32_e32 v2, v9
	v_lshlrev_b32_e32 v186, 4, v167
	v_mad_u64_u32 v[3:4], null, s15, v168, v[1:2]
	s_mov_b32 s14, 0x640f44db
	s_mov_b32 s15, 0xbfc2375f
	s_delay_alu instid0(VALU_DEP_1) | instskip(SKIP_3) | instid1(VALU_DEP_1)
	v_mad_u64_u32 v[4:5], null, s13, v167, v[2:3]
	v_mov_b32_e32 v1, v3
	s_mov_b32 s12, 0xd9c712b6
	s_mov_b32 s13, 0x3fda9628
	v_lshlrev_b64 v[10:11], 4, v[0:1]
	s_delay_alu instid0(VALU_DEP_3)
	v_mov_b32_e32 v9, v4
	s_clause 0x1
	global_load_b128 v[2:5], v186, s[8:9]
	global_load_b128 v[12:15], v186, s[8:9] offset:256
	v_add_co_u32 v0, vcc_lo, s18, v10
	v_lshlrev_b64 v[16:17], 4, v[8:9]
	v_add_co_ci_u32_e32 v1, vcc_lo, s19, v11, vcc_lo
	s_clause 0x1
	global_load_b128 v[6:9], v186, s[8:9] offset:512
	global_load_b128 v[133:136], v186, s[8:9] offset:768
	s_mov_b32 s18, 0x9bcd5057
	s_mov_b32 s19, 0xbfeeb42a
	v_add_co_u32 v32, vcc_lo, v0, v16
	v_add_co_ci_u32_e32 v33, vcc_lo, v1, v17, vcc_lo
	s_clause 0x1
	global_load_b128 v[16:19], v186, s[8:9] offset:1024
	global_load_b128 v[20:23], v186, s[8:9] offset:1280
	v_add_co_u32 v34, vcc_lo, v32, s2
	v_add_co_ci_u32_e32 v35, vcc_lo, s3, v33, vcc_lo
	s_clause 0x1
	global_load_b128 v[24:27], v186, s[8:9] offset:1536
	global_load_b128 v[28:31], v186, s[8:9] offset:1792
	v_add_co_u32 v36, vcc_lo, v34, s2
	v_add_co_ci_u32_e32 v37, vcc_lo, s3, v35, vcc_lo
	global_load_b128 v[45:48], v[32:33], off
	v_add_co_u32 v38, vcc_lo, v36, s2
	v_add_co_ci_u32_e32 v39, vcc_lo, s3, v37, vcc_lo
	s_clause 0x1
	global_load_b128 v[49:52], v[34:35], off
	global_load_b128 v[53:56], v[36:37], off
	v_add_co_u32 v32, vcc_lo, v38, s2
	v_add_co_ci_u32_e32 v33, vcc_lo, s3, v39, vcc_lo
	s_clause 0x1
	global_load_b128 v[57:60], v[38:39], off
	global_load_b128 v[61:64], v[32:33], off
	v_add_co_u32 v34, vcc_lo, v32, s2
	v_add_co_ci_u32_e32 v35, vcc_lo, s3, v33, vcc_lo
	s_delay_alu instid0(VALU_DEP_2) | instskip(NEXT) | instid1(VALU_DEP_2)
	v_add_co_u32 v32, vcc_lo, v34, s2
	v_add_co_ci_u32_e32 v33, vcc_lo, s3, v35, vcc_lo
	global_load_b128 v[65:68], v[34:35], off
	v_add_co_u32 v34, vcc_lo, v32, s2
	v_add_co_ci_u32_e32 v35, vcc_lo, s3, v33, vcc_lo
	global_load_b128 v[69:72], v[32:33], off
	;; [unrolled: 3-line block ×4, first 2 shown]
	v_add_co_u32 v85, vcc_lo, v40, s2
	v_add_co_ci_u32_e32 v86, vcc_lo, s3, v41, vcc_lo
	s_clause 0x1
	global_load_b128 v[36:39], v186, s[8:9] offset:2048
	global_load_b128 v[32:35], v186, s[8:9] offset:2304
	global_load_b128 v[81:84], v[40:41], off
	global_load_b128 v[40:43], v186, s[8:9] offset:2560
	global_load_b128 v[85:88], v[85:86], off
	s_load_b128 s[4:7], s[6:7], 0x0
	s_mov_b32 s2, 0x8764f0ba
	s_mov_b32 s3, 0x3feaeb8c
	v_cmp_gt_u32_e32 vcc_lo, 11, v167
	s_waitcnt vmcnt(21)
	scratch_store_b128 off, v[2:5], off offset:4 ; 16-byte Folded Spill
	s_waitcnt vmcnt(20)
	scratch_store_b128 off, v[12:15], off offset:20 ; 16-byte Folded Spill
	s_waitcnt vmcnt(19)
	scratch_store_b128 off, v[6:9], off offset:36 ; 16-byte Folded Spill
	s_waitcnt vmcnt(18)
	scratch_store_b128 off, v[133:136], off offset:52 ; 16-byte Folded Spill
	s_waitcnt vmcnt(17)
	scratch_store_b128 off, v[16:19], off offset:68 ; 16-byte Folded Spill
	s_waitcnt vmcnt(13)
	v_mul_f64 v[89:90], v[47:48], v[4:5]
	v_mul_f64 v[91:92], v[45:46], v[4:5]
	s_waitcnt vmcnt(12)
	v_mul_f64 v[93:94], v[51:52], v[14:15]
	v_mul_f64 v[95:96], v[49:50], v[14:15]
	;; [unrolled: 3-line block ×11, first 2 shown]
	v_fma_f64 v[45:46], v[45:46], v[2:3], v[89:90]
	v_fma_f64 v[47:48], v[47:48], v[2:3], -v[91:92]
	v_fma_f64 v[49:50], v[49:50], v[12:13], v[93:94]
	v_fma_f64 v[51:52], v[51:52], v[12:13], -v[95:96]
	v_fma_f64 v[53:54], v[53:54], v[6:7], v[97:98]
	v_fma_f64 v[55:56], v[55:56], v[6:7], -v[99:100]
	v_fma_f64 v[57:58], v[57:58], v[133:134], v[101:102]
	v_fma_f64 v[59:60], v[59:60], v[133:134], -v[103:104]
	v_fma_f64 v[61:62], v[61:62], v[16:17], v[105:106]
	v_fma_f64 v[63:64], v[63:64], v[16:17], -v[107:108]
	v_fma_f64 v[89:90], v[65:66], v[20:21], v[109:110]
	v_fma_f64 v[91:92], v[67:68], v[20:21], -v[111:112]
	v_mul_u32_u24_e32 v68, 0xb0, v44
	v_fma_f64 v[69:70], v[69:70], v[24:25], v[113:114]
	v_fma_f64 v[71:72], v[71:72], v[24:25], -v[115:116]
	s_delay_alu instid0(VALU_DEP_3) | instskip(SKIP_3) | instid1(VALU_DEP_4)
	v_or_b32_e32 v0, v68, v167
	v_lshl_or_b32 v184, v68, 4, v186
	v_fma_f64 v[73:74], v[73:74], v[28:29], v[117:118]
	v_fma_f64 v[75:76], v[75:76], v[28:29], -v[119:120]
	v_lshlrev_b32_e32 v183, 4, v0
	v_mul_u32_u24_e32 v0, 11, v167
	v_fma_f64 v[77:78], v[77:78], v[36:37], v[121:122]
	v_fma_f64 v[79:80], v[79:80], v[36:37], -v[123:124]
	v_fma_f64 v[81:82], v[81:82], v[32:33], v[125:126]
	v_fma_f64 v[83:84], v[83:84], v[32:33], -v[127:128]
	;; [unrolled: 2-line block ×3, first 2 shown]
	ds_store_b128 v183, v[45:48]
	ds_store_b128 v184, v[49:52] offset:256
	ds_store_b128 v184, v[53:56] offset:512
	;; [unrolled: 1-line block ×10, first 2 shown]
	s_waitcnt lgkmcnt(0)
	s_waitcnt_vscnt null, 0x0
	s_barrier
	buffer_gl0_inv
	ds_load_b128 v[48:51], v183
	ds_load_b128 v[69:72], v184 offset:256
	ds_load_b128 v[44:47], v184 offset:2560
	ds_load_b128 v[56:59], v184 offset:2048
	ds_load_b128 v[52:55], v184 offset:2304
	ds_load_b128 v[73:76], v184 offset:512
	ds_load_b128 v[77:80], v184 offset:768
	ds_load_b128 v[64:67], v184 offset:1536
	ds_load_b128 v[60:63], v184 offset:1792
	ds_load_b128 v[81:84], v184 offset:1024
	ds_load_b128 v[85:88], v184 offset:1280
	scratch_store_b32 off, v167, off        ; 4-byte Folded Spill
	s_waitcnt lgkmcnt(0)
	s_waitcnt_vscnt null, 0x0
	s_barrier
	buffer_gl0_inv
	v_add_f64 v[89:90], v[48:49], v[69:70]
	v_add_f64 v[91:92], v[50:51], v[71:72]
	v_add_f64 v[93:94], v[71:72], -v[46:47]
	v_add_f64 v[95:96], v[69:70], -v[44:45]
	;; [unrolled: 1-line block ×4, first 2 shown]
	v_add_f64 v[105:106], v[77:78], v[56:57]
	v_add_f64 v[107:108], v[79:80], v[58:59]
	v_add_f64 v[97:98], v[75:76], -v[54:55]
	v_add_f64 v[99:100], v[73:74], -v[52:53]
	v_add_f64 v[69:70], v[69:70], v[44:45]
	v_add_f64 v[71:72], v[71:72], v[46:47]
	v_add_f64 v[121:122], v[85:86], -v[64:65]
	v_add_f64 v[109:110], v[81:82], v[60:61]
	v_add_f64 v[111:112], v[83:84], -v[62:63]
	v_add_f64 v[113:114], v[81:82], -v[60:61]
	v_add_f64 v[115:116], v[83:84], v[62:63]
	v_add_f64 v[117:118], v[85:86], v[64:65]
	;; [unrolled: 1-line block ×3, first 2 shown]
	v_add_f64 v[123:124], v[87:88], -v[66:67]
	v_add_f64 v[89:90], v[89:90], v[73:74]
	v_add_f64 v[91:92], v[91:92], v[75:76]
	v_mul_f64 v[125:126], v[93:94], s[26:27]
	v_mul_f64 v[127:128], v[95:96], s[26:27]
	;; [unrolled: 1-line block ×12, first 2 shown]
	s_mov_b32 s21, 0x3fed1bb4
	v_add_f64 v[73:74], v[73:74], v[52:53]
	v_add_f64 v[75:76], v[75:76], v[54:55]
	v_mul_f64 v[145:146], v[97:98], s[24:25]
	v_mul_f64 v[147:148], v[99:100], s[24:25]
	;; [unrolled: 1-line block ×21, first 2 shown]
	v_add_f64 v[77:78], v[89:90], v[77:78]
	v_add_f64 v[79:80], v[91:92], v[79:80]
	v_mul_f64 v[89:90], v[97:98], s[34:35]
	v_mul_f64 v[91:92], v[99:100], s[34:35]
	v_mul_f64 v[97:98], v[97:98], s[30:31]
	v_mul_f64 v[99:100], v[99:100], s[30:31]
	v_fma_f64 v[207:208], v[69:70], s[12:13], -v[129:130]
	v_fma_f64 v[209:210], v[71:72], s[12:13], v[131:132]
	v_fma_f64 v[129:130], v[69:70], s[12:13], v[129:130]
	v_fma_f64 v[131:132], v[71:72], s[12:13], -v[131:132]
	v_fma_f64 v[211:212], v[69:70], s[14:15], -v[133:134]
	v_fma_f64 v[213:214], v[71:72], s[14:15], v[135:136]
	v_fma_f64 v[133:134], v[69:70], s[14:15], v[133:134]
	v_fma_f64 v[135:136], v[71:72], s[14:15], -v[135:136]
	v_fma_f64 v[215:216], v[69:70], s[16:17], -v[137:138]
	v_fma_f64 v[217:218], v[71:72], s[16:17], v[139:140]
	v_fma_f64 v[137:138], v[69:70], s[16:17], v[137:138]
	v_fma_f64 v[139:140], v[71:72], s[16:17], -v[139:140]
	v_fma_f64 v[219:220], v[69:70], s[18:19], -v[93:94]
	v_fma_f64 v[221:222], v[71:72], s[18:19], v[95:96]
	v_fma_f64 v[223:224], v[73:74], s[16:17], -v[145:146]
	v_fma_f64 v[225:226], v[75:76], s[16:17], v[147:148]
	v_fma_f64 v[145:146], v[73:74], s[16:17], v[145:146]
	v_fma_f64 v[147:148], v[75:76], s[16:17], -v[147:148]
	v_fma_f64 v[231:232], v[73:74], s[14:15], -v[149:150]
	v_fma_f64 v[233:234], v[75:76], s[14:15], v[151:152]
	v_fma_f64 v[149:150], v[73:74], s[14:15], v[149:150]
	v_mul_f64 v[177:178], v[113:114], s[36:37]
	v_mul_f64 v[179:180], v[111:112], s[26:27]
	;; [unrolled: 1-line block ×8, first 2 shown]
	v_fma_f64 v[235:236], v[105:106], s[18:19], -v[157:158]
	v_fma_f64 v[237:238], v[107:108], s[18:19], v[159:160]
	v_fma_f64 v[157:158], v[105:106], s[18:19], v[157:158]
	v_add_f64 v[77:78], v[77:78], v[81:82]
	v_add_f64 v[79:80], v[79:80], v[83:84]
	v_mul_f64 v[81:82], v[121:122], s[20:21]
	v_fma_f64 v[83:84], v[69:70], s[2:3], -v[125:126]
	v_fma_f64 v[121:122], v[71:72], s[2:3], v[127:128]
	v_fma_f64 v[125:126], v[69:70], s[2:3], v[125:126]
	v_fma_f64 v[127:128], v[71:72], s[2:3], -v[127:128]
	v_fma_f64 v[69:70], v[69:70], s[18:19], v[93:94]
	v_fma_f64 v[71:72], v[71:72], s[18:19], -v[95:96]
	v_fma_f64 v[93:94], v[73:74], s[12:13], -v[141:142]
	v_fma_f64 v[95:96], v[75:76], s[12:13], v[143:144]
	v_fma_f64 v[141:142], v[73:74], s[12:13], v[141:142]
	v_fma_f64 v[143:144], v[75:76], s[12:13], -v[143:144]
	v_fma_f64 v[227:228], v[73:74], s[18:19], -v[89:90]
	v_fma_f64 v[229:230], v[75:76], s[18:19], v[91:92]
	v_fma_f64 v[89:90], v[73:74], s[18:19], v[89:90]
	v_fma_f64 v[91:92], v[75:76], s[18:19], -v[91:92]
	v_add_f64 v[207:208], v[48:49], v[207:208]
	v_add_f64 v[209:210], v[50:51], v[209:210]
	v_add_f64 v[129:130], v[48:49], v[129:130]
	v_add_f64 v[211:212], v[48:49], v[211:212]
	v_add_f64 v[213:214], v[50:51], v[213:214]
	v_add_f64 v[133:134], v[48:49], v[133:134]
	v_add_f64 v[215:216], v[48:49], v[215:216]
	v_add_f64 v[217:218], v[50:51], v[217:218]
	v_add_f64 v[137:138], v[48:49], v[137:138]
	v_add_f64 v[219:220], v[48:49], v[219:220]
	v_add_f64 v[221:222], v[50:51], v[221:222]
	v_add_f64 v[135:136], v[50:51], v[135:136]
	v_add_f64 v[131:132], v[50:51], v[131:132]
	v_fma_f64 v[159:160], v[107:108], s[18:19], -v[159:160]
	v_fma_f64 v[239:240], v[105:106], s[2:3], -v[161:162]
	v_fma_f64 v[241:242], v[107:108], s[2:3], v[163:164]
	v_fma_f64 v[161:162], v[105:106], s[2:3], v[161:162]
	v_fma_f64 v[163:164], v[107:108], s[2:3], -v[163:164]
	v_fma_f64 v[247:248], v[105:106], s[12:13], -v[101:102]
	v_fma_f64 v[101:102], v[105:106], s[12:13], v[101:102]
	v_mul_f64 v[195:196], v[123:124], s[30:31]
	v_add_f64 v[77:78], v[77:78], v[85:86]
	v_add_f64 v[79:80], v[79:80], v[87:88]
	v_fma_f64 v[85:86], v[75:76], s[14:15], -v[151:152]
	v_fma_f64 v[87:88], v[73:74], s[2:3], -v[97:98]
	v_fma_f64 v[151:152], v[75:76], s[2:3], v[99:100]
	v_fma_f64 v[73:74], v[73:74], s[2:3], v[97:98]
	v_fma_f64 v[75:76], v[75:76], s[2:3], -v[99:100]
	v_add_f64 v[83:84], v[48:49], v[83:84]
	v_add_f64 v[125:126], v[48:49], v[125:126]
	;; [unrolled: 1-line block ×7, first 2 shown]
	v_fma_f64 v[97:98], v[105:106], s[14:15], -v[153:154]
	v_fma_f64 v[99:100], v[107:108], s[14:15], v[155:156]
	v_fma_f64 v[153:154], v[105:106], s[14:15], v[153:154]
	v_fma_f64 v[155:156], v[107:108], s[14:15], -v[155:156]
	v_fma_f64 v[121:122], v[105:106], s[16:17], v[165:166]
	v_fma_f64 v[139:140], v[107:108], s[16:17], -v[169:170]
	v_add_f64 v[129:130], v[145:146], v[129:130]
	v_mul_f64 v[199:200], v[123:124], s[24:25]
	v_add_f64 v[89:90], v[89:90], v[133:134]
	v_add_f64 v[133:134], v[231:232], v[215:216]
	;; [unrolled: 1-line block ×4, first 2 shown]
	v_mul_f64 v[203:204], v[123:124], s[22:23]
	v_mul_f64 v[123:124], v[123:124], s[20:21]
	v_fma_f64 v[243:244], v[109:110], s[14:15], -v[175:176]
	v_fma_f64 v[245:246], v[115:116], s[14:15], v[177:178]
	v_fma_f64 v[175:176], v[109:110], s[14:15], v[175:176]
	v_fma_f64 v[177:178], v[115:116], s[14:15], -v[177:178]
	v_add_f64 v[64:65], v[77:78], v[64:65]
	v_add_f64 v[66:67], v[79:80], v[66:67]
	v_fma_f64 v[77:78], v[105:106], s[16:17], -v[165:166]
	v_fma_f64 v[79:80], v[107:108], s[16:17], v[169:170]
	v_fma_f64 v[105:106], v[107:108], s[12:13], v[103:104]
	v_fma_f64 v[103:104], v[107:108], s[12:13], -v[103:104]
	v_add_f64 v[87:88], v[87:88], v[219:220]
	v_add_f64 v[83:84], v[93:94], v[83:84]
	;; [unrolled: 1-line block ×15, first 2 shown]
	v_fma_f64 v[165:166], v[109:110], s[16:17], -v[171:172]
	v_fma_f64 v[169:170], v[115:116], s[16:17], v[173:174]
	v_fma_f64 v[171:172], v[109:110], s[16:17], v[171:172]
	v_fma_f64 v[173:174], v[115:116], s[16:17], -v[173:174]
	v_fma_f64 v[85:86], v[109:110], s[2:3], v[179:180]
	v_fma_f64 v[91:92], v[115:116], s[2:3], -v[181:182]
	v_fma_f64 v[95:96], v[109:110], s[18:19], -v[187:188]
	v_fma_f64 v[131:132], v[115:116], s[18:19], v[189:190]
	v_fma_f64 v[135:136], v[109:110], s[18:19], v[187:188]
	v_fma_f64 v[147:148], v[115:116], s[18:19], -v[189:190]
	v_fma_f64 v[151:152], v[117:118], s[18:19], -v[191:192]
	v_fma_f64 v[189:190], v[109:110], s[12:13], -v[111:112]
	v_add_f64 v[89:90], v[101:102], v[89:90]
	v_add_f64 v[101:102], v[239:240], v[133:134]
	v_fma_f64 v[187:188], v[119:120], s[18:19], -v[193:194]
	v_fma_f64 v[133:134], v[117:118], s[16:17], v[199:200]
	v_add_f64 v[60:61], v[64:65], v[60:61]
	v_add_f64 v[62:63], v[66:67], v[62:63]
	v_fma_f64 v[64:65], v[109:110], s[2:3], -v[179:180]
	v_fma_f64 v[66:67], v[115:116], s[2:3], v[181:182]
	v_fma_f64 v[181:182], v[117:118], s[18:19], v[191:192]
	v_fma_f64 v[191:192], v[115:116], s[12:13], v[113:114]
	v_fma_f64 v[109:110], v[109:110], s[12:13], v[111:112]
	v_fma_f64 v[111:112], v[115:116], s[12:13], -v[113:114]
	v_add_f64 v[83:84], v[97:98], v[83:84]
	v_add_f64 v[93:94], v[153:154], v[93:94]
	;; [unrolled: 1-line block ×18, first 2 shown]
	v_fma_f64 v[179:180], v[119:120], s[18:19], v[193:194]
	v_fma_f64 v[87:88], v[117:118], s[2:3], v[195:196]
	v_fma_f64 v[99:100], v[119:120], s[2:3], -v[197:198]
	v_fma_f64 v[103:104], v[117:118], s[16:17], -v[199:200]
	v_fma_f64 v[121:122], v[119:120], s[16:17], v[201:202]
	v_fma_f64 v[138:139], v[119:120], s[16:17], -v[201:202]
	v_fma_f64 v[142:143], v[117:118], s[14:15], -v[203:204]
	v_fma_f64 v[149:150], v[119:120], s[14:15], v[205:206]
	v_fma_f64 v[153:154], v[117:118], s[14:15], v[203:204]
	v_fma_f64 v[155:156], v[119:120], s[14:15], -v[205:206]
	v_fma_f64 v[157:158], v[117:118], s[12:13], -v[123:124]
	v_fma_f64 v[159:160], v[119:120], s[12:13], v[81:82]
	v_add_f64 v[56:57], v[60:61], v[56:57]
	v_add_f64 v[58:59], v[62:63], v[58:59]
	v_fma_f64 v[60:61], v[117:118], s[2:3], -v[195:196]
	v_fma_f64 v[62:63], v[119:120], s[2:3], v[197:198]
	v_fma_f64 v[161:162], v[117:118], s[12:13], v[123:124]
	v_fma_f64 v[81:82], v[119:120], s[12:13], -v[81:82]
	v_add_f64 v[85:86], v[85:86], v[89:90]
	v_add_f64 v[89:90], v[95:96], v[101:102]
	;; [unrolled: 1-line block ×20, first 2 shown]
	s_load_b64 s[2:3], s[0:1], 0x38
	v_add_co_u32 v169, s0, s8, v186
	s_delay_alu instid0(VALU_DEP_1)
	v_add_co_ci_u32_e64 v170, null, s9, 0, s0
                                        ; implicit-def: $vgpr164_vgpr165
	v_add_f64 v[52:53], v[56:57], v[52:53]
	v_add_f64 v[54:55], v[58:59], v[54:55]
	;; [unrolled: 1-line block ×22, first 2 shown]
	v_add_lshl_u32 v187, v68, v0, 4
                                        ; implicit-def: $vgpr160_vgpr161
                                        ; implicit-def: $vgpr156_vgpr157
                                        ; implicit-def: $vgpr152_vgpr153
                                        ; implicit-def: $vgpr148_vgpr149
	v_add_f64 v[104:105], v[52:53], v[44:45]
	v_add_f64 v[106:107], v[54:55], v[46:47]
	ds_store_b128 v187, v[112:115] offset:32
	ds_store_b128 v187, v[116:119] offset:48
	;; [unrolled: 1-line block ×9, first 2 shown]
	ds_store_b128 v187, v[104:107]
	ds_store_b128 v187, v[108:111] offset:16
	s_waitcnt lgkmcnt(0)
	s_barrier
	buffer_gl0_inv
	s_and_saveexec_b32 s0, vcc_lo
	s_cbranch_execz .LBB0_3
; %bb.2:
	ds_load_b128 v[104:107], v183
	ds_load_b128 v[108:111], v184 offset:176
	ds_load_b128 v[112:115], v184 offset:352
	;; [unrolled: 1-line block ×15, first 2 shown]
.LBB0_3:
	s_or_b32 exec_lo, exec_lo, s0
	scratch_load_b32 v1, off, off           ; 4-byte Folded Reload
	s_mov_b32 s12, 0xa6aea964
	s_mov_b32 s14, 0xcf328d46
	;; [unrolled: 1-line block ×8, first 2 shown]
	s_waitcnt vmcnt(0)
	v_add_nc_u32_e32 v0, -11, v1
	s_delay_alu instid0(VALU_DEP_1) | instskip(NEXT) | instid1(VALU_DEP_1)
	v_cndmask_b32_e32 v0, v0, v1, vcc_lo
	v_mul_i32_i24_e32 v1, 0xf0, v0
	v_mul_hi_i32_i24_e32 v0, 0xf0, v0
	s_delay_alu instid0(VALU_DEP_2) | instskip(NEXT) | instid1(VALU_DEP_1)
	v_add_co_u32 v96, s0, s10, v1
	v_add_co_ci_u32_e64 v97, s0, s11, v0, s0
	s_mov_b32 s0, 0x667f3bcd
	s_mov_b32 s1, 0xbfe6a09e
	;; [unrolled: 1-line block ×3, first 2 shown]
	s_clause 0xe
	global_load_b128 v[44:47], v[96:97], off
	global_load_b128 v[56:59], v[96:97], off offset:16
	global_load_b128 v[52:55], v[96:97], off offset:32
	;; [unrolled: 1-line block ×14, first 2 shown]
	s_mov_b32 s10, s0
	s_waitcnt vmcnt(14) lgkmcnt(14)
	v_mul_f64 v[171:172], v[110:111], v[46:47]
	v_mul_f64 v[173:174], v[108:109], v[46:47]
	s_waitcnt vmcnt(13) lgkmcnt(13)
	v_mul_f64 v[175:176], v[114:115], v[58:59]
	v_mul_f64 v[177:178], v[112:113], v[58:59]
	;; [unrolled: 3-line block ×9, first 2 shown]
	s_waitcnt vmcnt(5)
	v_mul_f64 v[212:213], v[146:147], v[82:83]
	v_mul_f64 v[214:215], v[144:145], v[82:83]
	s_waitcnt vmcnt(4) lgkmcnt(1)
	v_mul_f64 v[216:217], v[162:163], v[102:103]
	v_mul_f64 v[218:219], v[160:161], v[102:103]
	s_waitcnt vmcnt(3)
	v_mul_f64 v[220:221], v[138:139], v[86:87]
	v_mul_f64 v[222:223], v[136:137], v[86:87]
	s_waitcnt vmcnt(2)
	;; [unrolled: 3-line block ×3, first 2 shown]
	v_mul_f64 v[228:229], v[150:151], v[94:95]
	v_mul_f64 v[230:231], v[148:149], v[94:95]
	s_waitcnt vmcnt(0) lgkmcnt(0)
	v_mul_f64 v[232:233], v[164:165], v[98:99]
	v_mul_f64 v[234:235], v[166:167], v[98:99]
	v_fma_f64 v[108:109], v[108:109], v[44:45], -v[171:172]
	v_fma_f64 v[110:111], v[110:111], v[44:45], v[173:174]
	v_fma_f64 v[112:113], v[112:113], v[56:57], -v[175:176]
	v_fma_f64 v[114:115], v[114:115], v[56:57], v[177:178]
	v_fma_f64 v[116:117], v[116:117], v[52:53], -v[179:180]
	v_fma_f64 v[118:119], v[118:119], v[52:53], v[181:182]
	v_fma_f64 v[120:121], v[120:121], v[48:49], -v[188:189]
	v_fma_f64 v[122:123], v[122:123], v[48:49], v[190:191]
	v_fma_f64 v[124:125], v[124:125], v[64:65], -v[192:193]
	v_fma_f64 v[126:127], v[126:127], v[64:65], v[194:195]
	v_fma_f64 v[128:129], v[128:129], v[72:73], -v[196:197]
	v_fma_f64 v[130:131], v[130:131], v[72:73], v[198:199]
	v_fma_f64 v[132:133], v[132:133], v[68:69], -v[200:201]
	v_fma_f64 v[134:135], v[134:135], v[68:69], v[202:203]
	v_fma_f64 v[140:141], v[140:141], v[60:61], -v[204:205]
	v_fma_f64 v[142:143], v[142:143], v[60:61], v[206:207]
	v_fma_f64 v[152:153], v[152:153], v[76:77], -v[208:209]
	v_fma_f64 v[154:155], v[154:155], v[76:77], v[210:211]
	v_fma_f64 v[144:145], v[144:145], v[80:81], -v[212:213]
	v_fma_f64 v[146:147], v[146:147], v[80:81], v[214:215]
	v_fma_f64 v[160:161], v[160:161], v[100:101], -v[216:217]
	v_fma_f64 v[162:163], v[162:163], v[100:101], v[218:219]
	v_fma_f64 v[136:137], v[136:137], v[84:85], -v[220:221]
	v_fma_f64 v[138:139], v[138:139], v[84:85], v[222:223]
	v_fma_f64 v[158:159], v[158:159], v[88:89], v[224:225]
	v_fma_f64 v[156:157], v[156:157], v[88:89], -v[226:227]
	v_fma_f64 v[148:149], v[148:149], v[92:93], -v[228:229]
	v_fma_f64 v[150:151], v[150:151], v[92:93], v[230:231]
	v_fma_f64 v[166:167], v[166:167], v[96:97], v[232:233]
	v_fma_f64 v[164:165], v[164:165], v[96:97], -v[234:235]
	v_add_f64 v[140:141], v[104:105], -v[140:141]
	v_add_f64 v[142:143], v[106:107], -v[142:143]
	;; [unrolled: 1-line block ×16, first 2 shown]
	v_fma_f64 v[104:105], v[104:105], 2.0, -v[140:141]
	v_fma_f64 v[106:107], v[106:107], 2.0, -v[142:143]
	v_add_f64 v[173:174], v[142:143], v[152:153]
	v_add_f64 v[171:172], v[140:141], -v[154:155]
	v_fma_f64 v[120:121], v[120:121], 2.0, -v[152:153]
	v_fma_f64 v[122:123], v[122:123], 2.0, -v[154:155]
	v_add_f64 v[177:178], v[146:147], v[160:161]
	v_add_f64 v[175:176], v[144:145], -v[162:163]
	v_fma_f64 v[112:113], v[112:113], 2.0, -v[144:145]
	v_fma_f64 v[114:115], v[114:115], 2.0, -v[146:147]
	v_add_f64 v[188:189], v[136:137], -v[158:159]
	v_add_f64 v[190:191], v[138:139], v[156:157]
	v_fma_f64 v[128:129], v[128:129], 2.0, -v[160:161]
	v_fma_f64 v[152:153], v[130:131], 2.0, -v[162:163]
	v_add_f64 v[179:180], v[148:149], -v[166:167]
	v_add_f64 v[181:182], v[150:151], v[164:165]
	v_fma_f64 v[108:109], v[108:109], 2.0, -v[136:137]
	v_fma_f64 v[110:111], v[110:111], 2.0, -v[138:139]
	;; [unrolled: 1-line block ×10, first 2 shown]
	v_add_f64 v[162:163], v[106:107], -v[122:123]
	v_fma_f64 v[142:143], v[177:178], s[10:11], v[173:174]
	v_fma_f64 v[140:141], v[144:145], 2.0, -v[175:176]
	v_fma_f64 v[144:145], v[146:147], 2.0, -v[177:178]
	;; [unrolled: 1-line block ×4, first 2 shown]
	v_fma_f64 v[138:139], v[175:176], s[10:11], v[171:172]
	v_add_f64 v[122:123], v[114:115], -v[152:153]
	v_fma_f64 v[146:147], v[179:180], s[10:11], v[188:189]
	v_fma_f64 v[158:159], v[181:182], s[10:11], v[190:191]
	v_fma_f64 v[160:161], v[148:149], 2.0, -v[179:180]
	v_fma_f64 v[192:193], v[150:151], 2.0, -v[181:182]
	v_add_f64 v[148:149], v[104:105], -v[120:121]
	v_add_f64 v[120:121], v[112:113], -v[128:129]
	;; [unrolled: 1-line block ×6, first 2 shown]
	v_fma_f64 v[154:155], v[106:107], 2.0, -v[162:163]
	v_fma_f64 v[128:129], v[175:176], s[10:11], v[142:143]
	v_fma_f64 v[198:199], v[140:141], s[0:1], v[126:127]
	;; [unrolled: 1-line block ×4, first 2 shown]
	v_fma_f64 v[106:107], v[114:115], 2.0, -v[122:123]
	v_fma_f64 v[202:203], v[181:182], s[0:1], v[146:147]
	v_fma_f64 v[204:205], v[179:180], s[10:11], v[158:159]
	v_fma_f64 v[158:159], v[160:161], s[0:1], v[132:133]
	v_fma_f64 v[175:176], v[192:193], s[0:1], v[136:137]
	v_fma_f64 v[150:151], v[104:105], 2.0, -v[148:149]
	v_fma_f64 v[104:105], v[112:113], 2.0, -v[120:121]
	;; [unrolled: 1-line block ×6, first 2 shown]
	v_add_f64 v[134:135], v[148:149], -v[122:123]
	v_add_f64 v[142:143], v[162:163], v[120:121]
	v_add_f64 v[179:180], v[164:165], -v[196:197]
	v_add_f64 v[181:182], v[166:167], v[194:195]
	v_fma_f64 v[146:147], v[173:174], 2.0, -v[128:129]
	v_fma_f64 v[138:139], v[144:145], s[0:1], v[198:199]
	v_fma_f64 v[144:145], v[140:141], s[10:11], v[200:201]
	v_fma_f64 v[140:141], v[171:172], 2.0, -v[124:125]
	v_fma_f64 v[112:113], v[188:189], 2.0, -v[202:203]
	;; [unrolled: 1-line block ×3, first 2 shown]
	v_fma_f64 v[171:172], v[192:193], s[0:1], v[158:159]
	v_fma_f64 v[175:176], v[160:161], s[10:11], v[175:176]
	v_add_f64 v[160:161], v[154:155], -v[106:107]
	v_add_f64 v[158:159], v[150:151], -v[104:105]
	v_fma_f64 v[120:121], v[202:203], s[18:19], v[124:125]
	v_fma_f64 v[194:195], v[204:205], s[18:19], v[128:129]
	v_add_f64 v[173:174], v[152:153], -v[108:109]
	v_add_f64 v[177:178], v[156:157], -v[110:111]
	v_fma_f64 v[108:109], v[179:180], s[10:11], v[134:135]
	v_fma_f64 v[110:111], v[181:182], s[10:11], v[142:143]
	;; [unrolled: 1-line block ×7, first 2 shown]
	v_add_f64 v[106:107], v[160:161], v[173:174]
	v_add_f64 v[104:105], v[158:159], -v[177:178]
	v_fma_f64 v[116:117], v[181:182], s[0:1], v[108:109]
	v_fma_f64 v[118:119], v[179:180], s[10:11], v[110:111]
	;; [unrolled: 1-line block ×7, first 2 shown]
	s_and_saveexec_b32 s18, vcc_lo
	s_cbranch_execz .LBB0_5
; %bb.4:
	v_fma_f64 v[188:189], v[162:163], 2.0, -v[142:143]
	v_fma_f64 v[162:163], v[166:167], 2.0, -v[181:182]
	;; [unrolled: 1-line block ×17, first 2 shown]
	v_fma_f64 v[148:149], v[162:163], s[0:1], v[188:189]
	v_fma_f64 v[152:153], v[136:137], s[14:15], v[166:167]
	;; [unrolled: 1-line block ×4, first 2 shown]
	v_add_f64 v[132:133], v[181:182], -v[126:127]
	v_fma_f64 v[126:127], v[128:129], 2.0, -v[122:123]
	v_add_f64 v[130:131], v[156:157], -v[130:131]
	v_fma_f64 v[150:151], v[164:165], s[10:11], v[148:149]
	v_fma_f64 v[154:155], v[171:172], s[16:17], v[152:153]
	;; [unrolled: 1-line block ×3, first 2 shown]
	v_fma_f64 v[136:137], v[142:143], 2.0, -v[118:119]
	v_fma_f64 v[148:149], v[162:163], s[0:1], v[177:178]
	v_fma_f64 v[142:143], v[144:145], 2.0, -v[114:115]
	v_fma_f64 v[164:165], v[181:182], 2.0, -v[132:133]
	v_fma_f64 v[144:145], v[140:141], 2.0, -v[108:109]
	v_fma_f64 v[162:163], v[156:157], 2.0, -v[130:131]
	v_fma_f64 v[140:141], v[138:139], 2.0, -v[112:113]
	v_fma_f64 v[173:174], v[188:189], 2.0, -v[150:151]
	v_fma_f64 v[177:178], v[166:167], 2.0, -v[154:155]
	v_fma_f64 v[175:176], v[175:176], 2.0, -v[152:153]
	v_fma_f64 v[171:172], v[179:180], 2.0, -v[148:149]
	ds_store_b128 v183, v[162:165]
	ds_store_b128 v184, v[144:147] offset:528
	ds_store_b128 v184, v[158:161] offset:704
	;; [unrolled: 1-line block ×15, first 2 shown]
.LBB0_5:
	s_or_b32 exec_lo, exec_lo, s18
	s_waitcnt lgkmcnt(0)
	s_barrier
	buffer_gl0_inv
	global_load_b128 v[124:127], v[169:170], off offset:2816
	s_add_u32 s0, s8, 0xb00
	s_addc_u32 s1, s9, 0
	s_clause 0x5
	global_load_b128 v[128:131], v186, s[0:1] offset:256
	global_load_b128 v[132:135], v186, s[0:1] offset:512
	;; [unrolled: 1-line block ×6, first 2 shown]
	ds_load_b128 v[152:155], v183
	s_mov_b32 s18, 0xf8bb580b
	s_mov_b32 s36, 0x8eee2c13
	s_mov_b32 s34, 0x43842ef
	s_mov_b32 s16, 0xbb3a28a1
	s_mov_b32 s30, 0xfd768dbf
	s_mov_b32 s19, 0xbfe14ced
	s_mov_b32 s37, 0xbfed1bb4
	s_mov_b32 s35, 0xbfefac9e
	s_mov_b32 s17, 0xbfe82f19
	s_mov_b32 s31, 0xbfd207e7
	s_mov_b32 s14, 0x8764f0ba
	s_mov_b32 s12, 0xd9c712b6
	s_mov_b32 s10, 0x640f44db
	s_mov_b32 s8, 0x7f775887
	s_mov_b32 s15, 0x3feaeb8c
	s_mov_b32 s13, 0x3fda9628
	s_mov_b32 s11, 0xbfc2375f
	s_mov_b32 s9, 0xbfe4f49e
	s_mov_b32 s27, 0x3fed1bb4
	s_mov_b32 s25, 0x3fefac9e
	s_mov_b32 s23, 0x3fe82f19
	s_mov_b32 s26, s36
	s_mov_b32 s24, s34
	s_mov_b32 s22, s16
	s_mov_b32 s29, 0x3fe14ced
	s_mov_b32 s21, 0x3fd207e7
	s_mov_b32 s28, s18
	s_mov_b32 s20, s30
	s_waitcnt vmcnt(6) lgkmcnt(0)
	v_mul_f64 v[156:157], v[154:155], v[126:127]
	v_mul_f64 v[126:127], v[152:153], v[126:127]
	s_delay_alu instid0(VALU_DEP_2) | instskip(NEXT) | instid1(VALU_DEP_2)
	v_fma_f64 v[152:153], v[152:153], v[124:125], -v[156:157]
	v_fma_f64 v[154:155], v[154:155], v[124:125], v[126:127]
	ds_store_b128 v183, v[152:155]
	ds_load_b128 v[124:127], v184 offset:256
	ds_load_b128 v[152:155], v184 offset:512
	s_waitcnt vmcnt(5) lgkmcnt(1)
	v_mul_f64 v[156:157], v[126:127], v[130:131]
	v_mul_f64 v[130:131], v[124:125], v[130:131]
	s_waitcnt vmcnt(4) lgkmcnt(0)
	v_mul_f64 v[158:159], v[154:155], v[134:135]
	v_mul_f64 v[134:135], v[152:153], v[134:135]
	s_delay_alu instid0(VALU_DEP_4) | instskip(NEXT) | instid1(VALU_DEP_4)
	v_fma_f64 v[124:125], v[124:125], v[128:129], -v[156:157]
	v_fma_f64 v[126:127], v[126:127], v[128:129], v[130:131]
	ds_load_b128 v[128:131], v184 offset:768
	v_fma_f64 v[152:153], v[152:153], v[132:133], -v[158:159]
	v_fma_f64 v[154:155], v[154:155], v[132:133], v[134:135]
	ds_load_b128 v[132:135], v184 offset:1024
	s_waitcnt vmcnt(3) lgkmcnt(1)
	v_mul_f64 v[156:157], v[130:131], v[138:139]
	v_mul_f64 v[138:139], v[128:129], v[138:139]
	s_waitcnt vmcnt(2) lgkmcnt(0)
	v_mul_f64 v[158:159], v[134:135], v[142:143]
	v_mul_f64 v[142:143], v[132:133], v[142:143]
	s_delay_alu instid0(VALU_DEP_4) | instskip(NEXT) | instid1(VALU_DEP_4)
	v_fma_f64 v[128:129], v[128:129], v[136:137], -v[156:157]
	v_fma_f64 v[130:131], v[130:131], v[136:137], v[138:139]
	ds_load_b128 v[136:139], v184 offset:1280
	v_fma_f64 v[132:133], v[132:133], v[140:141], -v[158:159]
	v_fma_f64 v[134:135], v[134:135], v[140:141], v[142:143]
	ds_load_b128 v[140:143], v184 offset:1536
	s_waitcnt vmcnt(1) lgkmcnt(1)
	v_mul_f64 v[156:157], v[138:139], v[146:147]
	v_mul_f64 v[146:147], v[136:137], v[146:147]
	s_waitcnt vmcnt(0) lgkmcnt(0)
	v_mul_f64 v[158:159], v[142:143], v[150:151]
	v_mul_f64 v[150:151], v[140:141], v[150:151]
	s_delay_alu instid0(VALU_DEP_4) | instskip(NEXT) | instid1(VALU_DEP_4)
	v_fma_f64 v[136:137], v[136:137], v[144:145], -v[156:157]
	v_fma_f64 v[138:139], v[138:139], v[144:145], v[146:147]
	global_load_b128 v[144:147], v186, s[0:1] offset:1792
	v_fma_f64 v[140:141], v[140:141], v[148:149], -v[158:159]
	v_fma_f64 v[142:143], v[142:143], v[148:149], v[150:151]
	global_load_b128 v[148:151], v186, s[0:1] offset:2048
	ds_load_b128 v[156:159], v184 offset:1792
	ds_load_b128 v[160:163], v184 offset:2048
	s_waitcnt vmcnt(1) lgkmcnt(1)
	v_mul_f64 v[164:165], v[158:159], v[146:147]
	v_mul_f64 v[146:147], v[156:157], v[146:147]
	s_delay_alu instid0(VALU_DEP_2) | instskip(NEXT) | instid1(VALU_DEP_2)
	v_fma_f64 v[156:157], v[156:157], v[144:145], -v[164:165]
	v_fma_f64 v[158:159], v[158:159], v[144:145], v[146:147]
	s_waitcnt vmcnt(0) lgkmcnt(0)
	v_mul_f64 v[144:145], v[162:163], v[150:151]
	v_mul_f64 v[146:147], v[160:161], v[150:151]
	s_delay_alu instid0(VALU_DEP_2) | instskip(NEXT) | instid1(VALU_DEP_2)
	v_fma_f64 v[144:145], v[160:161], v[148:149], -v[144:145]
	v_fma_f64 v[146:147], v[162:163], v[148:149], v[146:147]
	s_clause 0x1
	global_load_b128 v[148:151], v186, s[0:1] offset:2304
	global_load_b128 v[160:163], v186, s[0:1] offset:2560
	ds_load_b128 v[164:167], v184 offset:2304
	ds_load_b128 v[169:172], v184 offset:2560
	s_mov_b32 s0, 0x9bcd5057
	s_mov_b32 s1, 0xbfeeb42a
	s_waitcnt vmcnt(1) lgkmcnt(1)
	v_mul_f64 v[173:174], v[166:167], v[150:151]
	v_mul_f64 v[150:151], v[164:165], v[150:151]
	s_delay_alu instid0(VALU_DEP_2) | instskip(NEXT) | instid1(VALU_DEP_2)
	v_fma_f64 v[164:165], v[164:165], v[148:149], -v[173:174]
	v_fma_f64 v[166:167], v[166:167], v[148:149], v[150:151]
	s_waitcnt vmcnt(0) lgkmcnt(0)
	v_mul_f64 v[148:149], v[171:172], v[162:163]
	v_mul_f64 v[150:151], v[169:170], v[162:163]
	s_delay_alu instid0(VALU_DEP_2) | instskip(NEXT) | instid1(VALU_DEP_2)
	v_fma_f64 v[148:149], v[169:170], v[160:161], -v[148:149]
	v_fma_f64 v[150:151], v[171:172], v[160:161], v[150:151]
	ds_store_b128 v184, v[124:127] offset:256
	ds_store_b128 v184, v[152:155] offset:512
	;; [unrolled: 1-line block ×10, first 2 shown]
	s_waitcnt lgkmcnt(0)
	s_barrier
	buffer_gl0_inv
	ds_load_b128 v[124:127], v183
	ds_load_b128 v[128:131], v184 offset:256
	ds_load_b128 v[132:135], v184 offset:512
	ds_load_b128 v[136:139], v184 offset:768
	s_waitcnt lgkmcnt(2)
	v_add_f64 v[140:141], v[124:125], v[128:129]
	v_add_f64 v[142:143], v[126:127], v[130:131]
	s_waitcnt lgkmcnt(1)
	s_delay_alu instid0(VALU_DEP_2) | instskip(NEXT) | instid1(VALU_DEP_2)
	v_add_f64 v[140:141], v[140:141], v[132:133]
	v_add_f64 v[142:143], v[142:143], v[134:135]
	s_waitcnt lgkmcnt(0)
	s_delay_alu instid0(VALU_DEP_2) | instskip(NEXT) | instid1(VALU_DEP_2)
	v_add_f64 v[148:149], v[140:141], v[136:137]
	v_add_f64 v[150:151], v[142:143], v[138:139]
	ds_load_b128 v[140:143], v184 offset:1024
	ds_load_b128 v[144:147], v184 offset:1280
	s_waitcnt lgkmcnt(1)
	v_add_f64 v[148:149], v[148:149], v[140:141]
	v_add_f64 v[150:151], v[150:151], v[142:143]
	s_waitcnt lgkmcnt(0)
	s_delay_alu instid0(VALU_DEP_2) | instskip(NEXT) | instid1(VALU_DEP_2)
	v_add_f64 v[156:157], v[148:149], v[144:145]
	v_add_f64 v[158:159], v[150:151], v[146:147]
	ds_load_b128 v[148:151], v184 offset:1536
	ds_load_b128 v[152:155], v184 offset:1792
	s_waitcnt lgkmcnt(1)
	v_add_f64 v[169:170], v[144:145], v[148:149]
	v_add_f64 v[160:161], v[146:147], v[150:151]
	v_add_f64 v[171:172], v[144:145], -v[148:149]
	v_add_f64 v[162:163], v[146:147], -v[150:151]
	s_waitcnt lgkmcnt(0)
	v_add_f64 v[173:174], v[140:141], -v[152:153]
	v_add_f64 v[144:145], v[156:157], v[148:149]
	v_add_f64 v[146:147], v[158:159], v[150:151]
	;; [unrolled: 1-line block ×4, first 2 shown]
	v_add_f64 v[156:157], v[142:143], -v[154:155]
	v_mul_f64 v[232:233], v[160:161], s[0:1]
	v_mul_f64 v[244:245], v[160:161], s[14:15]
	;; [unrolled: 1-line block ×8, first 2 shown]
	v_add_f64 v[152:153], v[144:145], v[152:153]
	v_add_f64 v[154:155], v[146:147], v[154:155]
	ds_load_b128 v[140:143], v184 offset:2048
	ds_load_b128 v[144:147], v184 offset:2304
	v_mul_f64 v[228:229], v[150:151], s[8:9]
	v_mul_f64 v[226:227], v[156:157], s[16:17]
	;; [unrolled: 1-line block ×8, first 2 shown]
	s_waitcnt lgkmcnt(1)
	v_add_f64 v[158:159], v[138:139], -v[142:143]
	v_add_f64 v[164:165], v[138:139], v[142:143]
	v_add_f64 v[175:176], v[136:137], v[140:141]
	v_add_f64 v[177:178], v[136:137], -v[140:141]
	s_waitcnt lgkmcnt(0)
	v_add_f64 v[179:180], v[132:133], v[144:145]
	v_add_f64 v[181:182], v[132:133], -v[144:145]
	v_fma_f64 v[2:3], v[171:172], s[22:23], v[0:1]
	v_fma_f64 v[18:19], v[171:172], s[36:37], v[16:17]
	;; [unrolled: 1-line block ×3, first 2 shown]
	v_add_f64 v[136:137], v[152:153], v[140:141]
	v_add_f64 v[138:139], v[154:155], v[142:143]
	v_add_f64 v[152:153], v[134:135], -v[146:147]
	v_add_f64 v[154:155], v[134:135], v[146:147]
	ds_load_b128 v[132:135], v184 offset:2560
	s_waitcnt lgkmcnt(0)
	s_barrier
	buffer_gl0_inv
	v_fma_f64 v[14:15], v[173:174], s[20:21], v[12:13]
	v_mul_f64 v[222:223], v[158:159], s[34:35]
	v_mul_f64 v[224:225], v[164:165], s[10:11]
	;; [unrolled: 1-line block ×3, first 2 shown]
	v_add_f64 v[140:141], v[130:131], -v[134:135]
	v_add_f64 v[142:143], v[130:131], v[134:135]
	v_mul_f64 v[250:251], v[164:165], s[12:13]
	v_mul_f64 v[8:9], v[164:165], s[14:15]
	v_add_f64 v[136:137], v[136:137], v[144:145]
	v_add_f64 v[138:139], v[138:139], v[146:147]
	;; [unrolled: 1-line block ×3, first 2 shown]
	v_add_f64 v[146:147], v[128:129], -v[132:133]
	v_mul_f64 v[218:219], v[152:153], s[36:37]
	v_mul_f64 v[220:221], v[154:155], s[12:13]
	;; [unrolled: 1-line block ×9, first 2 shown]
	v_fma_f64 v[10:11], v[177:178], s[28:29], v[8:9]
	v_add_f64 v[128:129], v[136:137], v[132:133]
	v_add_f64 v[130:131], v[138:139], v[134:135]
	v_mul_f64 v[132:133], v[140:141], s[18:19]
	v_mul_f64 v[134:135], v[140:141], s[36:37]
	;; [unrolled: 1-line block ×5, first 2 shown]
	v_fma_f64 v[6:7], v[181:182], s[34:35], v[4:5]
	v_fma_f64 v[4:5], v[181:182], s[24:25], v[4:5]
	;; [unrolled: 1-line block ×9, first 2 shown]
	v_fma_f64 v[132:133], v[144:145], s[14:15], -v[132:133]
	v_fma_f64 v[188:189], v[144:145], s[12:13], v[134:135]
	v_fma_f64 v[134:135], v[144:145], s[12:13], -v[134:135]
	v_fma_f64 v[190:191], v[144:145], s[10:11], v[136:137]
	;; [unrolled: 2-line block ×4, first 2 shown]
	v_fma_f64 v[140:141], v[144:145], s[0:1], -v[140:141]
	v_mul_f64 v[144:145], v[142:143], s[12:13]
	v_mul_f64 v[142:143], v[142:143], s[14:15]
	v_add_f64 v[196:197], v[126:127], v[196:197]
	v_add_f64 v[198:199], v[126:127], v[198:199]
	;; [unrolled: 1-line block ×8, first 2 shown]
	v_fma_f64 v[202:203], v[146:147], s[26:27], v[144:145]
	v_fma_f64 v[210:211], v[146:147], s[18:19], v[142:143]
	;; [unrolled: 1-line block ×4, first 2 shown]
	v_add_f64 v[4:5], v[4:5], v[198:199]
	v_add_f64 v[188:189], v[126:127], v[202:203]
	;; [unrolled: 1-line block ×11, first 2 shown]
	v_fma_f64 v[124:125], v[179:180], s[12:13], -v[218:219]
	v_add_f64 v[214:215], v[126:127], v[144:145]
	v_add_f64 v[216:217], v[126:127], v[142:143]
	v_fma_f64 v[126:127], v[181:182], s[36:37], v[220:221]
	v_add_f64 v[6:7], v[6:7], v[192:193]
	v_mul_f64 v[192:193], v[158:159], s[18:19]
	v_add_f64 v[124:125], v[124:125], v[132:133]
	v_fma_f64 v[132:133], v[175:176], s[10:11], -v[222:223]
	v_add_f64 v[126:127], v[126:127], v[146:147]
	v_add_f64 v[6:7], v[10:11], v[6:7]
	v_mul_f64 v[10:11], v[156:157], s[30:31]
	v_mul_f64 v[156:157], v[156:157], s[26:27]
	v_add_f64 v[124:125], v[132:133], v[124:125]
	v_fma_f64 v[132:133], v[177:178], s[34:35], v[224:225]
	v_add_f64 v[6:7], v[14:15], v[6:7]
	v_mul_f64 v[14:15], v[162:163], s[26:27]
	v_mul_f64 v[162:163], v[162:163], s[34:35]
	s_delay_alu instid0(VALU_DEP_4) | instskip(SKIP_1) | instid1(VALU_DEP_1)
	v_add_f64 v[126:127], v[132:133], v[126:127]
	v_fma_f64 v[132:133], v[148:149], s[8:9], -v[226:227]
	v_add_f64 v[124:125], v[132:133], v[124:125]
	v_fma_f64 v[132:133], v[173:174], s[16:17], v[228:229]
	s_delay_alu instid0(VALU_DEP_1) | instskip(SKIP_1) | instid1(VALU_DEP_1)
	v_add_f64 v[126:127], v[132:133], v[126:127]
	v_fma_f64 v[132:133], v[169:170], s[0:1], -v[230:231]
	v_add_f64 v[140:141], v[132:133], v[124:125]
	v_fma_f64 v[124:125], v[171:172], s[30:31], v[232:233]
	s_delay_alu instid0(VALU_DEP_1) | instskip(SKIP_1) | instid1(VALU_DEP_1)
	v_add_f64 v[142:143], v[124:125], v[126:127]
	v_fma_f64 v[124:125], v[179:180], s[8:9], v[234:235]
	v_add_f64 v[124:125], v[124:125], v[166:167]
	v_mul_f64 v[166:167], v[154:155], s[8:9]
	s_delay_alu instid0(VALU_DEP_1) | instskip(NEXT) | instid1(VALU_DEP_1)
	v_fma_f64 v[126:127], v[181:182], s[22:23], v[166:167]
	v_add_f64 v[126:127], v[126:127], v[188:189]
	v_mul_f64 v[188:189], v[158:159], s[20:21]
	s_delay_alu instid0(VALU_DEP_1) | instskip(NEXT) | instid1(VALU_DEP_1)
	v_fma_f64 v[132:133], v[175:176], s[0:1], v[188:189]
	v_add_f64 v[124:125], v[132:133], v[124:125]
	v_fma_f64 v[132:133], v[177:178], s[30:31], v[236:237]
	s_delay_alu instid0(VALU_DEP_1) | instskip(SKIP_1) | instid1(VALU_DEP_1)
	v_add_f64 v[126:127], v[132:133], v[126:127]
	v_fma_f64 v[132:133], v[148:149], s[10:11], v[238:239]
	v_add_f64 v[124:125], v[132:133], v[124:125]
	v_fma_f64 v[132:133], v[173:174], s[34:35], v[240:241]
	s_delay_alu instid0(VALU_DEP_1) | instskip(SKIP_1) | instid1(VALU_DEP_1)
	v_add_f64 v[126:127], v[132:133], v[126:127]
	;; [unrolled: 5-line block ×4, first 2 shown]
	v_mul_f64 v[190:191], v[158:159], s[26:27]
	v_fma_f64 v[138:139], v[175:176], s[12:13], v[190:191]
	s_delay_alu instid0(VALU_DEP_1) | instskip(SKIP_1) | instid1(VALU_DEP_1)
	v_add_f64 v[132:133], v[138:139], v[132:133]
	v_fma_f64 v[138:139], v[177:178], s[36:37], v[250:251]
	v_add_f64 v[134:135], v[138:139], v[134:135]
	v_fma_f64 v[138:139], v[148:149], s[14:15], v[252:253]
	s_delay_alu instid0(VALU_DEP_1) | instskip(SKIP_1) | instid1(VALU_DEP_1)
	v_add_f64 v[132:133], v[138:139], v[132:133]
	v_fma_f64 v[138:139], v[173:174], s[28:29], v[254:255]
	v_add_f64 v[134:135], v[138:139], v[134:135]
	v_fma_f64 v[138:139], v[169:170], s[8:9], v[185:186]
	s_delay_alu instid0(VALU_DEP_2) | instskip(SKIP_1) | instid1(VALU_DEP_3)
	v_add_f64 v[134:135], v[2:3], v[134:135]
	v_mul_f64 v[2:3], v[152:153], s[24:25]
	v_add_f64 v[132:133], v[138:139], v[132:133]
	s_delay_alu instid0(VALU_DEP_2) | instskip(SKIP_1) | instid1(VALU_DEP_2)
	v_fma_f64 v[138:139], v[179:180], s[10:11], v[2:3]
	v_fma_f64 v[2:3], v[179:180], s[10:11], -v[2:3]
	v_add_f64 v[136:137], v[138:139], v[136:137]
	v_fma_f64 v[138:139], v[175:176], s[14:15], v[192:193]
	s_delay_alu instid0(VALU_DEP_3) | instskip(NEXT) | instid1(VALU_DEP_2)
	v_add_f64 v[2:3], v[2:3], v[206:207]
	v_add_f64 v[136:137], v[138:139], v[136:137]
	v_fma_f64 v[138:139], v[148:149], s[0:1], v[10:11]
	s_delay_alu instid0(VALU_DEP_1) | instskip(SKIP_1) | instid1(VALU_DEP_1)
	v_add_f64 v[136:137], v[138:139], v[136:137]
	v_fma_f64 v[138:139], v[169:170], s[12:13], v[14:15]
	v_add_f64 v[136:137], v[138:139], v[136:137]
	v_add_f64 v[138:139], v[18:19], v[6:7]
	v_mul_f64 v[6:7], v[152:153], s[28:29]
	v_mul_f64 v[152:153], v[154:155], s[14:15]
	;; [unrolled: 1-line block ×4, first 2 shown]
	s_delay_alu instid0(VALU_DEP_4) | instskip(NEXT) | instid1(VALU_DEP_4)
	v_fma_f64 v[18:19], v[179:180], s[14:15], v[6:7]
	v_fma_f64 v[144:145], v[181:182], s[18:19], v[152:153]
	s_delay_alu instid0(VALU_DEP_4) | instskip(SKIP_1) | instid1(VALU_DEP_4)
	v_fma_f64 v[146:147], v[175:176], s[8:9], v[154:155]
	v_fma_f64 v[6:7], v[179:180], s[14:15], -v[6:7]
	v_add_f64 v[18:19], v[18:19], v[194:195]
	s_delay_alu instid0(VALU_DEP_4) | instskip(NEXT) | instid1(VALU_DEP_3)
	v_add_f64 v[144:145], v[144:145], v[208:209]
	v_add_f64 v[6:7], v[6:7], v[210:211]
	s_delay_alu instid0(VALU_DEP_3) | instskip(SKIP_1) | instid1(VALU_DEP_1)
	v_add_f64 v[18:19], v[146:147], v[18:19]
	v_fma_f64 v[146:147], v[177:178], s[22:23], v[158:159]
	v_add_f64 v[144:145], v[146:147], v[144:145]
	v_fma_f64 v[146:147], v[148:149], s[12:13], v[156:157]
	s_delay_alu instid0(VALU_DEP_1) | instskip(SKIP_2) | instid1(VALU_DEP_2)
	v_add_f64 v[18:19], v[146:147], v[18:19]
	v_fma_f64 v[146:147], v[173:174], s[36:37], v[150:151]
	v_fma_f64 v[150:151], v[173:174], s[26:27], v[150:151]
	v_add_f64 v[146:147], v[146:147], v[144:145]
	v_fma_f64 v[144:145], v[169:170], s[10:11], v[162:163]
	s_delay_alu instid0(VALU_DEP_1) | instskip(SKIP_1) | instid1(VALU_DEP_1)
	v_add_f64 v[144:145], v[144:145], v[18:19]
	v_fma_f64 v[18:19], v[171:172], s[24:25], v[160:161]
	v_add_f64 v[146:147], v[18:19], v[146:147]
	v_fma_f64 v[18:19], v[181:182], s[28:29], v[152:153]
	v_fma_f64 v[152:153], v[175:176], s[8:9], -v[154:155]
	v_fma_f64 v[154:155], v[171:172], s[34:35], v[160:161]
	s_delay_alu instid0(VALU_DEP_3) | instskip(NEXT) | instid1(VALU_DEP_3)
	v_add_f64 v[18:19], v[18:19], v[200:201]
	v_add_f64 v[6:7], v[152:153], v[6:7]
	v_fma_f64 v[152:153], v[177:178], s[16:17], v[158:159]
	s_delay_alu instid0(VALU_DEP_1) | instskip(SKIP_1) | instid1(VALU_DEP_2)
	v_add_f64 v[18:19], v[152:153], v[18:19]
	v_fma_f64 v[152:153], v[148:149], s[12:13], -v[156:157]
	v_add_f64 v[18:19], v[150:151], v[18:19]
	s_delay_alu instid0(VALU_DEP_2) | instskip(SKIP_1) | instid1(VALU_DEP_3)
	v_add_f64 v[6:7], v[152:153], v[6:7]
	v_fma_f64 v[150:151], v[169:170], s[10:11], -v[162:163]
	v_add_f64 v[154:155], v[154:155], v[18:19]
	s_delay_alu instid0(VALU_DEP_2) | instskip(SKIP_1) | instid1(VALU_DEP_1)
	v_add_f64 v[152:153], v[150:151], v[6:7]
	v_fma_f64 v[6:7], v[175:176], s[14:15], -v[192:193]
	v_add_f64 v[2:3], v[6:7], v[2:3]
	v_fma_f64 v[6:7], v[177:178], s[18:19], v[8:9]
	v_fma_f64 v[8:9], v[171:172], s[26:27], v[16:17]
	s_delay_alu instid0(VALU_DEP_2) | instskip(SKIP_2) | instid1(VALU_DEP_2)
	v_add_f64 v[4:5], v[6:7], v[4:5]
	v_fma_f64 v[6:7], v[148:149], s[0:1], -v[10:11]
	v_fma_f64 v[10:11], v[173:174], s[22:23], v[228:229]
	v_add_f64 v[2:3], v[6:7], v[2:3]
	v_fma_f64 v[6:7], v[173:174], s[30:31], v[12:13]
	s_delay_alu instid0(VALU_DEP_1) | instskip(SKIP_1) | instid1(VALU_DEP_2)
	v_add_f64 v[4:5], v[6:7], v[4:5]
	v_fma_f64 v[6:7], v[169:170], s[12:13], -v[14:15]
	v_add_f64 v[158:159], v[8:9], v[4:5]
	s_delay_alu instid0(VALU_DEP_2) | instskip(SKIP_4) | instid1(VALU_DEP_4)
	v_add_f64 v[156:157], v[6:7], v[2:3]
	v_fma_f64 v[2:3], v[179:180], s[0:1], -v[246:247]
	v_fma_f64 v[4:5], v[181:182], s[20:21], v[248:249]
	v_fma_f64 v[6:7], v[175:176], s[12:13], -v[190:191]
	v_fma_f64 v[8:9], v[148:149], s[8:9], v[226:227]
	v_add_f64 v[2:3], v[2:3], v[204:205]
	s_delay_alu instid0(VALU_DEP_4) | instskip(NEXT) | instid1(VALU_DEP_2)
	v_add_f64 v[4:5], v[4:5], v[196:197]
	v_add_f64 v[2:3], v[6:7], v[2:3]
	v_fma_f64 v[6:7], v[177:178], s[26:27], v[250:251]
	s_delay_alu instid0(VALU_DEP_1) | instskip(SKIP_1) | instid1(VALU_DEP_1)
	v_add_f64 v[4:5], v[6:7], v[4:5]
	v_fma_f64 v[6:7], v[148:149], s[14:15], -v[252:253]
	v_add_f64 v[2:3], v[6:7], v[2:3]
	v_fma_f64 v[6:7], v[173:174], s[18:19], v[254:255]
	s_delay_alu instid0(VALU_DEP_1) | instskip(SKIP_1) | instid1(VALU_DEP_2)
	v_add_f64 v[4:5], v[6:7], v[4:5]
	v_fma_f64 v[6:7], v[169:170], s[8:9], -v[185:186]
	v_add_f64 v[162:163], v[0:1], v[4:5]
	v_fma_f64 v[0:1], v[179:180], s[8:9], -v[234:235]
	s_delay_alu instid0(VALU_DEP_3) | instskip(SKIP_4) | instid1(VALU_DEP_4)
	v_add_f64 v[160:161], v[6:7], v[2:3]
	v_fma_f64 v[2:3], v[181:182], s[16:17], v[166:167]
	v_fma_f64 v[4:5], v[175:176], s[0:1], -v[188:189]
	v_fma_f64 v[6:7], v[171:172], s[28:29], v[244:245]
	v_add_f64 v[0:1], v[0:1], v[202:203]
	v_add_f64 v[2:3], v[2:3], v[214:215]
	s_delay_alu instid0(VALU_DEP_2) | instskip(SKIP_1) | instid1(VALU_DEP_1)
	v_add_f64 v[0:1], v[4:5], v[0:1]
	v_fma_f64 v[4:5], v[177:178], s[20:21], v[236:237]
	v_add_f64 v[2:3], v[4:5], v[2:3]
	v_fma_f64 v[4:5], v[148:149], s[10:11], -v[238:239]
	s_delay_alu instid0(VALU_DEP_1) | instskip(SKIP_1) | instid1(VALU_DEP_1)
	v_add_f64 v[0:1], v[4:5], v[0:1]
	v_fma_f64 v[4:5], v[173:174], s[24:25], v[240:241]
	v_add_f64 v[2:3], v[4:5], v[2:3]
	v_fma_f64 v[4:5], v[169:170], s[14:15], -v[242:243]
	s_delay_alu instid0(VALU_DEP_2) | instskip(NEXT) | instid1(VALU_DEP_2)
	v_add_f64 v[166:167], v[6:7], v[2:3]
	v_add_f64 v[164:165], v[4:5], v[0:1]
	v_fma_f64 v[0:1], v[179:180], s[12:13], v[218:219]
	v_fma_f64 v[2:3], v[181:182], s[26:27], v[220:221]
	;; [unrolled: 1-line block ×4, first 2 shown]
	s_delay_alu instid0(VALU_DEP_4) | instskip(NEXT) | instid1(VALU_DEP_4)
	v_add_f64 v[0:1], v[0:1], v[212:213]
	v_add_f64 v[2:3], v[2:3], v[216:217]
	s_delay_alu instid0(VALU_DEP_2) | instskip(NEXT) | instid1(VALU_DEP_2)
	v_add_f64 v[0:1], v[4:5], v[0:1]
	v_add_f64 v[2:3], v[6:7], v[2:3]
	v_fma_f64 v[4:5], v[169:170], s[0:1], v[230:231]
	v_fma_f64 v[6:7], v[171:172], s[20:21], v[232:233]
	s_delay_alu instid0(VALU_DEP_4) | instskip(NEXT) | instid1(VALU_DEP_4)
	v_add_f64 v[0:1], v[8:9], v[0:1]
	v_add_f64 v[2:3], v[10:11], v[2:3]
	s_delay_alu instid0(VALU_DEP_2) | instskip(NEXT) | instid1(VALU_DEP_2)
	v_add_f64 v[148:149], v[4:5], v[0:1]
	v_add_f64 v[150:151], v[6:7], v[2:3]
	ds_store_b128 v187, v[124:127] offset:32
	ds_store_b128 v187, v[132:135] offset:48
	;; [unrolled: 1-line block ×10, first 2 shown]
	ds_store_b128 v187, v[128:131]
	s_waitcnt lgkmcnt(0)
	s_barrier
	buffer_gl0_inv
	s_and_saveexec_b32 s0, vcc_lo
	s_cbranch_execz .LBB0_7
; %bb.6:
	ds_load_b128 v[128:131], v183
	ds_load_b128 v[148:151], v184 offset:176
	ds_load_b128 v[124:127], v184 offset:352
	;; [unrolled: 1-line block ×15, first 2 shown]
.LBB0_7:
	s_or_b32 exec_lo, exec_lo, s0
	s_and_saveexec_b32 s10, vcc_lo
	s_cbranch_execz .LBB0_9
; %bb.8:
	s_waitcnt lgkmcnt(13)
	v_mul_f64 v[0:1], v[58:59], v[124:125]
	s_waitcnt lgkmcnt(5)
	v_mul_f64 v[2:3], v[82:83], v[140:141]
	v_mul_f64 v[4:5], v[74:75], v[154:155]
	s_waitcnt lgkmcnt(1)
	v_mul_f64 v[6:7], v[102:103], v[118:119]
	v_mul_f64 v[8:9], v[62:63], v[160:161]
	v_mul_f64 v[10:11], v[50:51], v[138:139]
	v_mul_f64 v[12:13], v[78:79], v[106:107]
	v_mul_f64 v[14:15], v[74:75], v[152:153]
	v_mul_f64 v[16:17], v[102:103], v[116:117]
	v_mul_f64 v[18:19], v[58:59], v[126:127]
	v_mul_f64 v[58:59], v[82:83], v[142:143]
	v_mul_f64 v[74:75], v[54:55], v[132:133]
	v_mul_f64 v[82:83], v[94:95], v[108:109]
	v_mul_f64 v[102:103], v[70:71], v[158:159]
	s_waitcnt lgkmcnt(0)
	v_mul_f64 v[169:170], v[98:99], v[122:123]
	v_mul_f64 v[171:172], v[46:47], v[148:149]
	;; [unrolled: 1-line block ×16, first 2 shown]
	s_mov_b32 s0, 0x667f3bcd
	s_mov_b32 s1, 0x3fe6a09e
	;; [unrolled: 1-line block ×8, first 2 shown]
	v_fma_f64 v[0:1], v[56:57], v[126:127], -v[0:1]
	v_fma_f64 v[2:3], v[80:81], v[142:143], -v[2:3]
	v_fma_f64 v[4:5], v[72:73], v[152:153], v[4:5]
	v_fma_f64 v[6:7], v[100:101], v[116:117], v[6:7]
	v_fma_f64 v[8:9], v[60:61], v[162:163], -v[8:9]
	v_fma_f64 v[10:11], v[48:49], v[136:137], v[10:11]
	v_fma_f64 v[12:13], v[76:77], v[104:105], v[12:13]
	v_fma_f64 v[14:15], v[72:73], v[154:155], -v[14:15]
	v_fma_f64 v[16:17], v[100:101], v[118:119], -v[16:17]
	v_fma_f64 v[18:19], v[56:57], v[124:125], v[18:19]
	v_fma_f64 v[56:57], v[80:81], v[140:141], v[58:59]
	v_fma_f64 v[58:59], v[52:53], v[134:135], -v[74:75]
	;; [unrolled: 4-line block ×6, first 2 shown]
	v_fma_f64 v[50:51], v[76:77], v[106:107], -v[78:79]
	v_fma_f64 v[60:61], v[60:61], v[160:161], v[62:63]
	s_mov_b32 s17, 0x3fd87de2
	s_mov_b32 s16, s14
	;; [unrolled: 1-line block ×4, first 2 shown]
	v_add_f64 v[2:3], v[0:1], -v[2:3]
	v_add_f64 v[6:7], v[4:5], -v[6:7]
	;; [unrolled: 1-line block ×16, first 2 shown]
	v_fma_f64 v[0:1], v[0:1], 2.0, -v[2:3]
	v_add_f64 v[84:85], v[2:3], -v[6:7]
	v_fma_f64 v[98:99], v[130:131], 2.0, -v[8:9]
	v_fma_f64 v[4:5], v[4:5], 2.0, -v[6:7]
	v_add_f64 v[80:81], v[8:9], -v[12:13]
	v_fma_f64 v[10:11], v[10:11], 2.0, -v[12:13]
	v_fma_f64 v[14:15], v[14:15], 2.0, -v[16:17]
	v_add_f64 v[86:87], v[16:17], v[56:57]
	v_fma_f64 v[18:19], v[18:19], 2.0, -v[56:57]
	v_fma_f64 v[12:13], v[58:59], 2.0, -v[62:63]
	v_add_f64 v[90:91], v[62:63], -v[72:73]
	v_add_f64 v[88:89], v[76:77], -v[78:79]
	v_fma_f64 v[16:17], v[102:103], 2.0, -v[78:79]
	v_fma_f64 v[58:59], v[68:69], 2.0, -v[70:71]
	v_add_f64 v[92:93], v[70:71], v[54:55]
	v_fma_f64 v[52:53], v[52:53], 2.0, -v[54:55]
	v_fma_f64 v[64:65], v[64:65], 2.0, -v[66:67]
	v_add_f64 v[94:95], v[66:67], v[46:47]
	;; [unrolled: 3-line block ×3, first 2 shown]
	v_fma_f64 v[50:51], v[82:83], 2.0, -v[76:77]
	v_fma_f64 v[44:45], v[44:45], 2.0, -v[46:47]
	;; [unrolled: 1-line block ×5, first 2 shown]
	v_fma_f64 v[68:69], v[84:85], s[0:1], v[80:81]
	v_add_f64 v[14:15], v[0:1], -v[14:15]
	v_fma_f64 v[8:9], v[56:57], 2.0, -v[86:87]
	v_add_f64 v[4:5], v[18:19], -v[4:5]
	v_fma_f64 v[62:63], v[62:63], 2.0, -v[90:91]
	v_fma_f64 v[56:57], v[76:77], 2.0, -v[88:89]
	v_fma_f64 v[70:71], v[90:91], s[0:1], v[88:89]
	v_add_f64 v[58:59], v[12:13], -v[58:59]
	v_fma_f64 v[54:55], v[54:55], 2.0, -v[92:93]
	v_fma_f64 v[46:47], v[46:47], 2.0, -v[94:95]
	v_add_f64 v[66:67], v[52:53], -v[66:67]
	v_add_f64 v[48:49], v[98:99], -v[48:49]
	v_fma_f64 v[60:61], v[60:61], 2.0, -v[96:97]
	v_add_f64 v[64:65], v[50:51], -v[64:65]
	v_add_f64 v[16:17], v[44:45], -v[16:17]
	;; [unrolled: 1-line block ×3, first 2 shown]
	v_fma_f64 v[74:75], v[92:93], s[0:1], v[94:95]
	v_fma_f64 v[76:77], v[86:87], s[0:1], v[96:97]
	;; [unrolled: 1-line block ×4, first 2 shown]
	v_fma_f64 v[0:1], v[0:1], 2.0, -v[14:15]
	v_fma_f64 v[18:19], v[18:19], 2.0, -v[4:5]
	v_fma_f64 v[82:83], v[62:63], s[8:9], v[56:57]
	v_fma_f64 v[68:69], v[92:93], s[8:9], v[70:71]
	v_fma_f64 v[12:13], v[12:13], 2.0, -v[58:59]
	v_fma_f64 v[100:101], v[54:55], s[8:9], v[46:47]
	v_fma_f64 v[52:53], v[52:53], 2.0, -v[66:67]
	v_fma_f64 v[70:71], v[98:99], 2.0, -v[48:49]
	v_fma_f64 v[102:103], v[8:9], s[8:9], v[60:61]
	v_fma_f64 v[50:51], v[50:51], 2.0, -v[64:65]
	v_fma_f64 v[44:45], v[44:45], 2.0, -v[16:17]
	;; [unrolled: 1-line block ×3, first 2 shown]
	v_fma_f64 v[74:75], v[90:91], s[0:1], v[74:75]
	v_fma_f64 v[76:77], v[84:85], s[0:1], v[76:77]
	v_add_f64 v[84:85], v[64:65], -v[66:67]
	v_add_f64 v[4:5], v[48:49], -v[4:5]
	v_add_f64 v[58:59], v[58:59], v[16:17]
	v_add_f64 v[14:15], v[10:11], v[14:15]
	v_fma_f64 v[8:9], v[8:9], s[8:9], v[78:79]
	v_fma_f64 v[80:81], v[80:81], 2.0, -v[86:87]
	v_fma_f64 v[78:79], v[54:55], s[8:9], v[82:83]
	v_fma_f64 v[82:83], v[88:89], 2.0, -v[68:69]
	v_fma_f64 v[66:67], v[62:63], s[0:1], v[100:101]
	v_add_f64 v[0:1], v[70:71], -v[0:1]
	v_fma_f64 v[2:3], v[2:3], s[0:1], v[102:103]
	v_add_f64 v[12:13], v[50:51], -v[12:13]
	v_add_f64 v[52:53], v[44:45], -v[52:53]
	;; [unrolled: 1-line block ×3, first 2 shown]
	v_fma_f64 v[62:63], v[94:95], 2.0, -v[74:75]
	v_fma_f64 v[88:89], v[96:97], 2.0, -v[76:77]
	;; [unrolled: 1-line block ×6, first 2 shown]
	v_fma_f64 v[48:49], v[84:85], s[0:1], v[4:5]
	v_fma_f64 v[102:103], v[58:59], s[0:1], v[14:15]
	;; [unrolled: 1-line block ×3, first 2 shown]
	v_fma_f64 v[6:7], v[6:7], 2.0, -v[8:9]
	v_fma_f64 v[92:93], v[56:57], 2.0, -v[78:79]
	v_fma_f64 v[56:57], v[82:83], s[14:15], v[80:81]
	v_fma_f64 v[94:95], v[46:47], 2.0, -v[66:67]
	v_fma_f64 v[46:47], v[68:69], s[12:13], v[86:87]
	v_fma_f64 v[96:97], v[70:71], 2.0, -v[0:1]
	v_fma_f64 v[104:105], v[60:61], 2.0, -v[2:3]
	;; [unrolled: 1-line block ×5, first 2 shown]
	v_fma_f64 v[70:71], v[78:79], s[16:17], v[8:9]
	v_fma_f64 v[64:65], v[62:63], s[14:15], v[88:89]
	;; [unrolled: 1-line block ×4, first 2 shown]
	v_add_f64 v[54:55], v[0:1], -v[52:53]
	v_fma_f64 v[114:115], v[16:17], s[8:9], v[10:11]
	v_fma_f64 v[50:51], v[58:59], s[8:9], v[48:49]
	v_add_f64 v[52:53], v[18:19], v[12:13]
	v_fma_f64 v[48:49], v[84:85], s[0:1], v[102:103]
	v_fma_f64 v[110:111], v[92:93], s[18:19], v[6:7]
	;; [unrolled: 1-line block ×5, first 2 shown]
	v_add_f64 v[62:63], v[96:97], -v[60:61]
	v_add_f64 v[60:61], v[98:99], -v[44:45]
	v_fma_f64 v[66:67], v[66:67], s[18:19], v[70:71]
	v_fma_f64 v[56:57], v[82:83], s[12:13], v[64:65]
	;; [unrolled: 1-line block ×6, first 2 shown]
	v_fma_f64 v[82:83], v[4:5], 2.0, -v[50:51]
	v_fma_f64 v[84:85], v[18:19], 2.0, -v[52:53]
	v_fma_f64 v[74:75], v[94:95], s[14:15], v[110:111]
	v_fma_f64 v[90:91], v[80:81], 2.0, -v[58:59]
	v_fma_f64 v[80:81], v[14:15], 2.0, -v[48:49]
	;; [unrolled: 1-line block ×4, first 2 shown]
	v_fma_f64 v[72:73], v[92:93], s[16:17], v[112:113]
	v_fma_f64 v[94:95], v[96:97], 2.0, -v[62:63]
	v_fma_f64 v[92:93], v[98:99], 2.0, -v[60:61]
	v_fma_f64 v[98:99], v[8:9], 2.0, -v[66:67]
	v_fma_f64 v[88:89], v[88:89], 2.0, -v[56:57]
	v_fma_f64 v[96:97], v[2:3], 2.0, -v[64:65]
	v_fma_f64 v[76:77], v[76:77], 2.0, -v[44:45]
	v_fma_f64 v[102:103], v[100:101], 2.0, -v[70:71]
	v_fma_f64 v[100:101], v[10:11], 2.0, -v[68:69]
	v_fma_f64 v[106:107], v[6:7], 2.0, -v[74:75]
	v_fma_f64 v[104:105], v[104:105], 2.0, -v[72:73]
	ds_store_b128 v183, v[92:95]
	ds_store_b128 v184, v[88:91] offset:528
	ds_store_b128 v184, v[84:87] offset:704
	;; [unrolled: 1-line block ×15, first 2 shown]
.LBB0_9:
	s_or_b32 exec_lo, exec_lo, s10
	s_waitcnt lgkmcnt(0)
	s_barrier
	buffer_gl0_inv
	ds_load_b128 v[44:47], v183
	ds_load_b128 v[48:51], v184 offset:256
	ds_load_b128 v[52:55], v184 offset:512
	ds_load_b128 v[56:59], v184 offset:768
	scratch_load_b32 v91, off, off          ; 4-byte Folded Reload
	ds_load_b128 v[60:63], v184 offset:1024
	ds_load_b128 v[64:67], v184 offset:1280
	ds_load_b128 v[68:71], v184 offset:1536
	ds_load_b128 v[72:75], v184 offset:1792
	ds_load_b128 v[76:79], v184 offset:2048
	ds_load_b128 v[80:83], v184 offset:2304
	scratch_load_b128 v[106:109], off, off offset:4 ; 16-byte Folded Reload
	ds_load_b128 v[84:87], v184 offset:2560
	v_mad_u64_u32 v[0:1], null, s6, v168, 0
	s_mov_b32 s0, 0x745d1746
	s_mov_b32 s1, 0x3f7745d1
	s_waitcnt lgkmcnt(5)
	v_mul_f64 v[94:95], v[22:23], v[66:67]
	v_mul_f64 v[22:23], v[22:23], v[64:65]
	s_waitcnt lgkmcnt(4)
	v_mul_f64 v[96:97], v[26:27], v[70:71]
	v_mul_f64 v[26:27], v[26:27], v[68:69]
	;; [unrolled: 3-line block ×6, first 2 shown]
	v_fma_f64 v[22:23], v[20:21], v[66:67], -v[22:23]
	v_fma_f64 v[26:27], v[24:25], v[70:71], -v[26:27]
	;; [unrolled: 1-line block ×3, first 2 shown]
	s_delay_alu instid0(VALU_DEP_4) | instskip(NEXT) | instid1(VALU_DEP_4)
	v_fma_f64 v[42:43], v[40:41], v[86:87], -v[42:43]
	v_mul_f64 v[22:23], v[22:23], s[0:1]
	s_delay_alu instid0(VALU_DEP_4) | instskip(NEXT) | instid1(VALU_DEP_4)
	v_mul_f64 v[26:27], v[26:27], s[0:1]
	v_mul_f64 v[30:31], v[30:31], s[0:1]
	s_delay_alu instid0(VALU_DEP_4)
	v_mul_f64 v[42:43], v[42:43], s[0:1]
	s_waitcnt vmcnt(1)
	v_mad_u64_u32 v[2:3], null, s4, v91, 0
	s_waitcnt vmcnt(0)
	v_mul_f64 v[4:5], v[108:109], v[46:47]
	v_mul_f64 v[6:7], v[108:109], v[44:45]
	scratch_load_b128 v[108:111], off, off offset:20 ; 16-byte Folded Reload
	v_mad_u64_u32 v[88:89], null, s7, v168, v[1:2]
	s_delay_alu instid0(VALU_DEP_1) | instskip(NEXT) | instid1(VALU_DEP_1)
	v_mov_b32_e32 v1, v88
	v_lshlrev_b64 v[0:1], 4, v[0:1]
	s_delay_alu instid0(VALU_DEP_1) | instskip(NEXT) | instid1(VALU_DEP_2)
	v_add_co_u32 v0, vcc_lo, s2, v0
	v_add_co_ci_u32_e32 v1, vcc_lo, s3, v1, vcc_lo
	s_lshl_b64 s[2:3], s[4:5], 8
	v_mad_u64_u32 v[89:90], null, s5, v91, v[3:4]
	v_fma_f64 v[4:5], v[106:107], v[44:45], v[4:5]
	v_fma_f64 v[6:7], v[106:107], v[46:47], -v[6:7]
	s_delay_alu instid0(VALU_DEP_3) | instskip(NEXT) | instid1(VALU_DEP_1)
	v_mov_b32_e32 v3, v89
	v_lshlrev_b64 v[2:3], 4, v[2:3]
	s_waitcnt vmcnt(0)
	v_mul_f64 v[8:9], v[110:111], v[50:51]
	v_mul_f64 v[10:11], v[110:111], v[48:49]
	scratch_load_b128 v[110:113], off, off offset:36 ; 16-byte Folded Reload
	v_fma_f64 v[8:9], v[108:109], v[48:49], v[8:9]
	v_fma_f64 v[10:11], v[108:109], v[50:51], -v[10:11]
	v_fma_f64 v[48:49], v[20:21], v[64:65], v[94:95]
	v_fma_f64 v[50:51], v[24:25], v[68:69], v[96:97]
	s_delay_alu instid0(VALU_DEP_2) | instskip(NEXT) | instid1(VALU_DEP_2)
	v_mul_f64 v[20:21], v[48:49], s[0:1]
	v_mul_f64 v[24:25], v[50:51], s[0:1]
	s_waitcnt vmcnt(0)
	v_mul_f64 v[12:13], v[112:113], v[54:55]
	v_mul_f64 v[14:15], v[112:113], v[52:53]
	scratch_load_b128 v[112:115], off, off offset:52 ; 16-byte Folded Reload
	v_fma_f64 v[12:13], v[110:111], v[52:53], v[12:13]
	v_fma_f64 v[14:15], v[110:111], v[54:55], -v[14:15]
	v_fma_f64 v[52:53], v[28:29], v[72:73], v[98:99]
	v_fma_f64 v[54:55], v[36:37], v[76:77], v[100:101]
	v_fma_f64 v[36:37], v[36:37], v[78:79], -v[38:39]
	v_fma_f64 v[38:39], v[32:33], v[80:81], v[102:103]
	s_delay_alu instid0(VALU_DEP_4)
	v_mul_f64 v[28:29], v[52:53], s[0:1]
	s_waitcnt vmcnt(0)
	v_mul_f64 v[16:17], v[114:115], v[58:59]
	v_mul_f64 v[18:19], v[114:115], v[56:57]
	scratch_load_b128 v[114:117], off, off offset:68 ; 16-byte Folded Reload
	v_fma_f64 v[16:17], v[112:113], v[56:57], v[16:17]
	v_fma_f64 v[18:19], v[112:113], v[58:59], -v[18:19]
	v_fma_f64 v[56:57], v[32:33], v[82:83], -v[34:35]
	v_fma_f64 v[58:59], v[40:41], v[84:85], v[104:105]
	v_mul_f64 v[32:33], v[54:55], s[0:1]
	v_mul_f64 v[34:35], v[36:37], s[0:1]
	;; [unrolled: 1-line block ×5, first 2 shown]
	s_waitcnt vmcnt(0)
	v_mul_f64 v[90:91], v[116:117], v[62:63]
	v_mul_f64 v[92:93], v[116:117], v[60:61]
	s_delay_alu instid0(VALU_DEP_2) | instskip(NEXT) | instid1(VALU_DEP_2)
	v_fma_f64 v[44:45], v[114:115], v[60:61], v[90:91]
	v_fma_f64 v[46:47], v[114:115], v[62:63], -v[92:93]
	v_add_co_u32 v60, vcc_lo, v0, v2
	v_add_co_ci_u32_e32 v61, vcc_lo, v1, v3, vcc_lo
	v_mul_f64 v[0:1], v[4:5], s[0:1]
	v_mul_f64 v[2:3], v[6:7], s[0:1]
	;; [unrolled: 1-line block ×6, first 2 shown]
	v_add_co_u32 v62, vcc_lo, v60, s2
	v_add_co_ci_u32_e32 v63, vcc_lo, s3, v61, vcc_lo
	v_mul_f64 v[12:13], v[16:17], s[0:1]
	s_delay_alu instid0(VALU_DEP_3) | instskip(NEXT) | instid1(VALU_DEP_3)
	v_add_co_u32 v64, vcc_lo, v62, s2
	v_add_co_ci_u32_e32 v65, vcc_lo, s3, v63, vcc_lo
	v_mul_f64 v[14:15], v[18:19], s[0:1]
	s_delay_alu instid0(VALU_DEP_3) | instskip(NEXT) | instid1(VALU_DEP_3)
	v_add_co_u32 v66, vcc_lo, v64, s2
	v_add_co_ci_u32_e32 v67, vcc_lo, s3, v65, vcc_lo
	s_clause 0x2
	global_store_b128 v[60:61], v[0:3], off
	global_store_b128 v[62:63], v[4:7], off
	;; [unrolled: 1-line block ×3, first 2 shown]
	v_mul_f64 v[16:17], v[44:45], s[0:1]
	v_mul_f64 v[18:19], v[46:47], s[0:1]
	v_add_co_u32 v44, vcc_lo, v66, s2
	v_add_co_ci_u32_e32 v45, vcc_lo, s3, v67, vcc_lo
	s_delay_alu instid0(VALU_DEP_2) | instskip(NEXT) | instid1(VALU_DEP_2)
	v_add_co_u32 v46, vcc_lo, v44, s2
	v_add_co_ci_u32_e32 v47, vcc_lo, s3, v45, vcc_lo
	global_store_b128 v[66:67], v[12:15], off
	v_add_co_u32 v48, vcc_lo, v46, s2
	v_add_co_ci_u32_e32 v49, vcc_lo, s3, v47, vcc_lo
	s_delay_alu instid0(VALU_DEP_2) | instskip(NEXT) | instid1(VALU_DEP_2)
	v_add_co_u32 v0, vcc_lo, v48, s2
	v_add_co_ci_u32_e32 v1, vcc_lo, s3, v49, vcc_lo
	s_delay_alu instid0(VALU_DEP_2) | instskip(NEXT) | instid1(VALU_DEP_2)
	;; [unrolled: 3-line block ×4, first 2 shown]
	v_add_co_u32 v6, vcc_lo, v4, s2
	v_add_co_ci_u32_e32 v7, vcc_lo, s3, v5, vcc_lo
	global_store_b128 v[44:45], v[16:19], off
	global_store_b128 v[46:47], v[20:23], off
	;; [unrolled: 1-line block ×7, first 2 shown]
.LBB0_10:
	s_nop 0
	s_sendmsg sendmsg(MSG_DEALLOC_VGPRS)
	s_endpgm
	.section	.rodata,"a",@progbits
	.p2align	6, 0x0
	.amdhsa_kernel bluestein_single_back_len176_dim1_dp_op_CI_CI
		.amdhsa_group_segment_fixed_size 11264
		.amdhsa_private_segment_fixed_size 88
		.amdhsa_kernarg_size 104
		.amdhsa_user_sgpr_count 15
		.amdhsa_user_sgpr_dispatch_ptr 0
		.amdhsa_user_sgpr_queue_ptr 0
		.amdhsa_user_sgpr_kernarg_segment_ptr 1
		.amdhsa_user_sgpr_dispatch_id 0
		.amdhsa_user_sgpr_private_segment_size 0
		.amdhsa_wavefront_size32 1
		.amdhsa_uses_dynamic_stack 0
		.amdhsa_enable_private_segment 1
		.amdhsa_system_sgpr_workgroup_id_x 1
		.amdhsa_system_sgpr_workgroup_id_y 0
		.amdhsa_system_sgpr_workgroup_id_z 0
		.amdhsa_system_sgpr_workgroup_info 0
		.amdhsa_system_vgpr_workitem_id 0
		.amdhsa_next_free_vgpr 256
		.amdhsa_next_free_sgpr 38
		.amdhsa_reserve_vcc 1
		.amdhsa_float_round_mode_32 0
		.amdhsa_float_round_mode_16_64 0
		.amdhsa_float_denorm_mode_32 3
		.amdhsa_float_denorm_mode_16_64 3
		.amdhsa_dx10_clamp 1
		.amdhsa_ieee_mode 1
		.amdhsa_fp16_overflow 0
		.amdhsa_workgroup_processor_mode 1
		.amdhsa_memory_ordered 1
		.amdhsa_forward_progress 0
		.amdhsa_shared_vgpr_count 0
		.amdhsa_exception_fp_ieee_invalid_op 0
		.amdhsa_exception_fp_denorm_src 0
		.amdhsa_exception_fp_ieee_div_zero 0
		.amdhsa_exception_fp_ieee_overflow 0
		.amdhsa_exception_fp_ieee_underflow 0
		.amdhsa_exception_fp_ieee_inexact 0
		.amdhsa_exception_int_div_zero 0
	.end_amdhsa_kernel
	.text
.Lfunc_end0:
	.size	bluestein_single_back_len176_dim1_dp_op_CI_CI, .Lfunc_end0-bluestein_single_back_len176_dim1_dp_op_CI_CI
                                        ; -- End function
	.section	.AMDGPU.csdata,"",@progbits
; Kernel info:
; codeLenInByte = 13036
; NumSgprs: 40
; NumVgprs: 256
; ScratchSize: 88
; MemoryBound: 0
; FloatMode: 240
; IeeeMode: 1
; LDSByteSize: 11264 bytes/workgroup (compile time only)
; SGPRBlocks: 4
; VGPRBlocks: 31
; NumSGPRsForWavesPerEU: 40
; NumVGPRsForWavesPerEU: 256
; Occupancy: 5
; WaveLimiterHint : 1
; COMPUTE_PGM_RSRC2:SCRATCH_EN: 1
; COMPUTE_PGM_RSRC2:USER_SGPR: 15
; COMPUTE_PGM_RSRC2:TRAP_HANDLER: 0
; COMPUTE_PGM_RSRC2:TGID_X_EN: 1
; COMPUTE_PGM_RSRC2:TGID_Y_EN: 0
; COMPUTE_PGM_RSRC2:TGID_Z_EN: 0
; COMPUTE_PGM_RSRC2:TIDIG_COMP_CNT: 0
	.text
	.p2alignl 7, 3214868480
	.fill 96, 4, 3214868480
	.type	__hip_cuid_1920a89c16677a84,@object ; @__hip_cuid_1920a89c16677a84
	.section	.bss,"aw",@nobits
	.globl	__hip_cuid_1920a89c16677a84
__hip_cuid_1920a89c16677a84:
	.byte	0                               ; 0x0
	.size	__hip_cuid_1920a89c16677a84, 1

	.ident	"AMD clang version 19.0.0git (https://github.com/RadeonOpenCompute/llvm-project roc-6.4.0 25133 c7fe45cf4b819c5991fe208aaa96edf142730f1d)"
	.section	".note.GNU-stack","",@progbits
	.addrsig
	.addrsig_sym __hip_cuid_1920a89c16677a84
	.amdgpu_metadata
---
amdhsa.kernels:
  - .args:
      - .actual_access:  read_only
        .address_space:  global
        .offset:         0
        .size:           8
        .value_kind:     global_buffer
      - .actual_access:  read_only
        .address_space:  global
        .offset:         8
        .size:           8
        .value_kind:     global_buffer
      - .actual_access:  read_only
        .address_space:  global
        .offset:         16
        .size:           8
        .value_kind:     global_buffer
      - .actual_access:  read_only
        .address_space:  global
        .offset:         24
        .size:           8
        .value_kind:     global_buffer
      - .actual_access:  read_only
        .address_space:  global
        .offset:         32
        .size:           8
        .value_kind:     global_buffer
      - .offset:         40
        .size:           8
        .value_kind:     by_value
      - .address_space:  global
        .offset:         48
        .size:           8
        .value_kind:     global_buffer
      - .address_space:  global
        .offset:         56
        .size:           8
        .value_kind:     global_buffer
      - .address_space:  global
        .offset:         64
        .size:           8
        .value_kind:     global_buffer
      - .address_space:  global
        .offset:         72
        .size:           8
        .value_kind:     global_buffer
      - .offset:         80
        .size:           4
        .value_kind:     by_value
      - .address_space:  global
        .offset:         88
        .size:           8
        .value_kind:     global_buffer
      - .address_space:  global
        .offset:         96
        .size:           8
        .value_kind:     global_buffer
    .group_segment_fixed_size: 11264
    .kernarg_segment_align: 8
    .kernarg_segment_size: 104
    .language:       OpenCL C
    .language_version:
      - 2
      - 0
    .max_flat_workgroup_size: 64
    .name:           bluestein_single_back_len176_dim1_dp_op_CI_CI
    .private_segment_fixed_size: 88
    .sgpr_count:     40
    .sgpr_spill_count: 0
    .symbol:         bluestein_single_back_len176_dim1_dp_op_CI_CI.kd
    .uniform_work_group_size: 1
    .uses_dynamic_stack: false
    .vgpr_count:     256
    .vgpr_spill_count: 21
    .wavefront_size: 32
    .workgroup_processor_mode: 1
amdhsa.target:   amdgcn-amd-amdhsa--gfx1100
amdhsa.version:
  - 1
  - 2
...

	.end_amdgpu_metadata
